;; amdgpu-corpus repo=ROCm/rocFFT kind=compiled arch=gfx906 opt=O3
	.text
	.amdgcn_target "amdgcn-amd-amdhsa--gfx906"
	.amdhsa_code_object_version 6
	.protected	fft_rtc_fwd_len26_factors_13_2_wgs_64_tpt_2_halfLds_dp_op_CI_CI_sbrr_dirReg ; -- Begin function fft_rtc_fwd_len26_factors_13_2_wgs_64_tpt_2_halfLds_dp_op_CI_CI_sbrr_dirReg
	.globl	fft_rtc_fwd_len26_factors_13_2_wgs_64_tpt_2_halfLds_dp_op_CI_CI_sbrr_dirReg
	.p2align	8
	.type	fft_rtc_fwd_len26_factors_13_2_wgs_64_tpt_2_halfLds_dp_op_CI_CI_sbrr_dirReg,@function
fft_rtc_fwd_len26_factors_13_2_wgs_64_tpt_2_halfLds_dp_op_CI_CI_sbrr_dirReg: ; @fft_rtc_fwd_len26_factors_13_2_wgs_64_tpt_2_halfLds_dp_op_CI_CI_sbrr_dirReg
; %bb.0:
	s_load_dwordx4 s[16:19], s[4:5], 0x18
	s_load_dwordx4 s[8:11], s[4:5], 0x0
	;; [unrolled: 1-line block ×3, first 2 shown]
	v_lshrrev_b32_e32 v16, 1, v0
	v_mov_b32_e32 v1, 0
	s_waitcnt lgkmcnt(0)
	s_load_dwordx2 s[20:21], s[16:17], 0x0
	s_load_dwordx2 s[2:3], s[18:19], 0x0
	v_cmp_lt_u64_e64 s[0:1], s[10:11], 2
	v_mov_b32_e32 v4, 0
	v_lshl_or_b32 v6, s6, 5, v16
	v_mov_b32_e32 v7, v1
	s_and_b64 vcc, exec, s[0:1]
	v_mov_b32_e32 v5, 0
	s_cbranch_vccnz .LBB0_8
; %bb.1:
	s_load_dwordx2 s[0:1], s[4:5], 0x10
	s_add_u32 s6, s18, 8
	s_addc_u32 s7, s19, 0
	s_add_u32 s22, s16, 8
	v_mov_b32_e32 v4, 0
	s_addc_u32 s23, s17, 0
	v_mov_b32_e32 v5, 0
	s_waitcnt lgkmcnt(0)
	s_add_u32 s24, s0, 8
	v_mov_b32_e32 v71, v5
	s_addc_u32 s25, s1, 0
	s_mov_b64 s[26:27], 1
	v_mov_b32_e32 v70, v4
.LBB0_2:                                ; =>This Inner Loop Header: Depth=1
	s_load_dwordx2 s[28:29], s[24:25], 0x0
                                        ; implicit-def: $vgpr72_vgpr73
	s_waitcnt lgkmcnt(0)
	v_or_b32_e32 v2, s29, v7
	v_cmp_ne_u64_e32 vcc, 0, v[1:2]
	s_and_saveexec_b64 s[0:1], vcc
	s_xor_b64 s[30:31], exec, s[0:1]
	s_cbranch_execz .LBB0_4
; %bb.3:                                ;   in Loop: Header=BB0_2 Depth=1
	v_cvt_f32_u32_e32 v2, s28
	v_cvt_f32_u32_e32 v3, s29
	s_sub_u32 s0, 0, s28
	s_subb_u32 s1, 0, s29
	v_mac_f32_e32 v2, 0x4f800000, v3
	v_rcp_f32_e32 v2, v2
	v_mul_f32_e32 v2, 0x5f7ffffc, v2
	v_mul_f32_e32 v3, 0x2f800000, v2
	v_trunc_f32_e32 v3, v3
	v_mac_f32_e32 v2, 0xcf800000, v3
	v_cvt_u32_f32_e32 v3, v3
	v_cvt_u32_f32_e32 v2, v2
	v_mul_lo_u32 v8, s0, v3
	v_mul_hi_u32 v9, s0, v2
	v_mul_lo_u32 v11, s1, v2
	v_mul_lo_u32 v10, s0, v2
	v_add_u32_e32 v8, v9, v8
	v_add_u32_e32 v8, v8, v11
	v_mul_hi_u32 v9, v2, v10
	v_mul_lo_u32 v11, v2, v8
	v_mul_hi_u32 v13, v2, v8
	v_mul_hi_u32 v12, v3, v10
	v_mul_lo_u32 v10, v3, v10
	v_mul_hi_u32 v14, v3, v8
	v_add_co_u32_e32 v9, vcc, v9, v11
	v_addc_co_u32_e32 v11, vcc, 0, v13, vcc
	v_mul_lo_u32 v8, v3, v8
	v_add_co_u32_e32 v9, vcc, v9, v10
	v_addc_co_u32_e32 v9, vcc, v11, v12, vcc
	v_addc_co_u32_e32 v10, vcc, 0, v14, vcc
	v_add_co_u32_e32 v8, vcc, v9, v8
	v_addc_co_u32_e32 v9, vcc, 0, v10, vcc
	v_add_co_u32_e32 v2, vcc, v2, v8
	v_addc_co_u32_e32 v3, vcc, v3, v9, vcc
	v_mul_lo_u32 v8, s0, v3
	v_mul_hi_u32 v9, s0, v2
	v_mul_lo_u32 v10, s1, v2
	v_mul_lo_u32 v11, s0, v2
	v_add_u32_e32 v8, v9, v8
	v_add_u32_e32 v8, v8, v10
	v_mul_lo_u32 v12, v2, v8
	v_mul_hi_u32 v13, v2, v11
	v_mul_hi_u32 v14, v2, v8
	;; [unrolled: 1-line block ×3, first 2 shown]
	v_mul_lo_u32 v11, v3, v11
	v_mul_hi_u32 v9, v3, v8
	v_add_co_u32_e32 v12, vcc, v13, v12
	v_addc_co_u32_e32 v13, vcc, 0, v14, vcc
	v_mul_lo_u32 v8, v3, v8
	v_add_co_u32_e32 v11, vcc, v12, v11
	v_addc_co_u32_e32 v10, vcc, v13, v10, vcc
	v_addc_co_u32_e32 v9, vcc, 0, v9, vcc
	v_add_co_u32_e32 v8, vcc, v10, v8
	v_addc_co_u32_e32 v9, vcc, 0, v9, vcc
	v_add_co_u32_e32 v8, vcc, v2, v8
	v_addc_co_u32_e32 v9, vcc, v3, v9, vcc
	v_mad_u64_u32 v[2:3], s[0:1], v6, v9, 0
	v_mul_hi_u32 v10, v6, v8
	v_add_co_u32_e32 v10, vcc, v10, v2
	v_addc_co_u32_e32 v11, vcc, 0, v3, vcc
	v_mad_u64_u32 v[2:3], s[0:1], v7, v8, 0
	v_mad_u64_u32 v[8:9], s[0:1], v7, v9, 0
	v_add_co_u32_e32 v2, vcc, v10, v2
	v_addc_co_u32_e32 v2, vcc, v11, v3, vcc
	v_addc_co_u32_e32 v3, vcc, 0, v9, vcc
	v_add_co_u32_e32 v8, vcc, v2, v8
	v_addc_co_u32_e32 v9, vcc, 0, v3, vcc
	v_mul_lo_u32 v10, s29, v8
	v_mul_lo_u32 v11, s28, v9
	v_mad_u64_u32 v[2:3], s[0:1], s28, v8, 0
	v_add3_u32 v3, v3, v11, v10
	v_sub_u32_e32 v10, v7, v3
	v_mov_b32_e32 v11, s29
	v_sub_co_u32_e32 v2, vcc, v6, v2
	v_subb_co_u32_e64 v10, s[0:1], v10, v11, vcc
	v_subrev_co_u32_e64 v11, s[0:1], s28, v2
	v_subbrev_co_u32_e64 v10, s[0:1], 0, v10, s[0:1]
	v_cmp_le_u32_e64 s[0:1], s29, v10
	v_cndmask_b32_e64 v12, 0, -1, s[0:1]
	v_cmp_le_u32_e64 s[0:1], s28, v11
	v_cndmask_b32_e64 v11, 0, -1, s[0:1]
	v_cmp_eq_u32_e64 s[0:1], s29, v10
	v_cndmask_b32_e64 v10, v12, v11, s[0:1]
	v_add_co_u32_e64 v11, s[0:1], 2, v8
	v_addc_co_u32_e64 v12, s[0:1], 0, v9, s[0:1]
	v_add_co_u32_e64 v13, s[0:1], 1, v8
	v_addc_co_u32_e64 v14, s[0:1], 0, v9, s[0:1]
	v_subb_co_u32_e32 v3, vcc, v7, v3, vcc
	v_cmp_ne_u32_e64 s[0:1], 0, v10
	v_cmp_le_u32_e32 vcc, s29, v3
	v_cndmask_b32_e64 v10, v14, v12, s[0:1]
	v_cndmask_b32_e64 v12, 0, -1, vcc
	v_cmp_le_u32_e32 vcc, s28, v2
	v_cndmask_b32_e64 v2, 0, -1, vcc
	v_cmp_eq_u32_e32 vcc, s29, v3
	v_cndmask_b32_e32 v2, v12, v2, vcc
	v_cmp_ne_u32_e32 vcc, 0, v2
	v_cndmask_b32_e64 v2, v13, v11, s[0:1]
	v_cndmask_b32_e32 v73, v9, v10, vcc
	v_cndmask_b32_e32 v72, v8, v2, vcc
.LBB0_4:                                ;   in Loop: Header=BB0_2 Depth=1
	s_andn2_saveexec_b64 s[0:1], s[30:31]
	s_cbranch_execz .LBB0_6
; %bb.5:                                ;   in Loop: Header=BB0_2 Depth=1
	v_cvt_f32_u32_e32 v2, s28
	s_sub_i32 s30, 0, s28
	v_mov_b32_e32 v73, v1
	v_rcp_iflag_f32_e32 v2, v2
	v_mul_f32_e32 v2, 0x4f7ffffe, v2
	v_cvt_u32_f32_e32 v2, v2
	v_mul_lo_u32 v3, s30, v2
	v_mul_hi_u32 v3, v2, v3
	v_add_u32_e32 v2, v2, v3
	v_mul_hi_u32 v2, v6, v2
	v_mul_lo_u32 v3, v2, s28
	v_add_u32_e32 v8, 1, v2
	v_sub_u32_e32 v3, v6, v3
	v_subrev_u32_e32 v9, s28, v3
	v_cmp_le_u32_e32 vcc, s28, v3
	v_cndmask_b32_e32 v3, v3, v9, vcc
	v_cndmask_b32_e32 v2, v2, v8, vcc
	v_add_u32_e32 v8, 1, v2
	v_cmp_le_u32_e32 vcc, s28, v3
	v_cndmask_b32_e32 v72, v2, v8, vcc
.LBB0_6:                                ;   in Loop: Header=BB0_2 Depth=1
	s_or_b64 exec, exec, s[0:1]
	v_mul_lo_u32 v8, v73, s28
	v_mul_lo_u32 v9, v72, s29
	v_mad_u64_u32 v[2:3], s[0:1], v72, s28, 0
	s_load_dwordx2 s[0:1], s[22:23], 0x0
	s_load_dwordx2 s[28:29], s[6:7], 0x0
	v_add3_u32 v3, v3, v9, v8
	v_sub_co_u32_e32 v2, vcc, v6, v2
	v_subb_co_u32_e32 v3, vcc, v7, v3, vcc
	s_waitcnt lgkmcnt(0)
	v_mul_lo_u32 v6, s0, v3
	v_mul_lo_u32 v7, s1, v2
	v_mad_u64_u32 v[4:5], s[0:1], s0, v2, v[4:5]
	v_mul_lo_u32 v3, s28, v3
	v_mul_lo_u32 v8, s29, v2
	v_mad_u64_u32 v[70:71], s[0:1], s28, v2, v[70:71]
	s_add_u32 s26, s26, 1
	s_addc_u32 s27, s27, 0
	s_add_u32 s6, s6, 8
	v_add3_u32 v71, v8, v71, v3
	s_addc_u32 s7, s7, 0
	v_mov_b32_e32 v2, s10
	s_add_u32 s22, s22, 8
	v_mov_b32_e32 v3, s11
	s_addc_u32 s23, s23, 0
	v_cmp_ge_u64_e32 vcc, s[26:27], v[2:3]
	s_add_u32 s24, s24, 8
	v_add3_u32 v5, v7, v5, v6
	s_addc_u32 s25, s25, 0
	s_cbranch_vccnz .LBB0_9
; %bb.7:                                ;   in Loop: Header=BB0_2 Depth=1
	v_mov_b32_e32 v6, v72
	v_mov_b32_e32 v7, v73
	s_branch .LBB0_2
.LBB0_8:
	v_mov_b32_e32 v71, v5
	v_mov_b32_e32 v73, v7
	;; [unrolled: 1-line block ×4, first 2 shown]
.LBB0_9:
	s_load_dwordx2 s[0:1], s[4:5], 0x28
	s_lshl_b64 s[10:11], s[10:11], 3
	s_add_u32 s4, s18, s10
	s_addc_u32 s5, s19, s11
	v_and_b32_e32 v68, 1, v0
	s_waitcnt lgkmcnt(0)
	v_cmp_gt_u64_e32 vcc, s[0:1], v[72:73]
	v_cmp_le_u64_e64 s[0:1], s[0:1], v[72:73]
                                        ; implicit-def: $vgpr74
                                        ; implicit-def: $vgpr75
                                        ; implicit-def: $vgpr78
                                        ; implicit-def: $vgpr79
                                        ; implicit-def: $vgpr76
	s_and_saveexec_b64 s[6:7], s[0:1]
	s_xor_b64 s[0:1], exec, s[6:7]
; %bb.10:
	v_and_b32_e32 v68, 1, v0
	v_or_b32_e32 v74, 2, v68
	v_or_b32_e32 v75, 4, v68
	;; [unrolled: 1-line block ×5, first 2 shown]
                                        ; implicit-def: $vgpr4_vgpr5
; %bb.11:
	s_or_saveexec_b64 s[6:7], s[0:1]
                                        ; implicit-def: $vgpr54_vgpr55
                                        ; implicit-def: $vgpr42_vgpr43
                                        ; implicit-def: $vgpr34_vgpr35
                                        ; implicit-def: $vgpr26_vgpr27
                                        ; implicit-def: $vgpr14_vgpr15
                                        ; implicit-def: $vgpr6_vgpr7
                                        ; implicit-def: $vgpr2_vgpr3
                                        ; implicit-def: $vgpr10_vgpr11
                                        ; implicit-def: $vgpr22_vgpr23
                                        ; implicit-def: $vgpr30_vgpr31
                                        ; implicit-def: $vgpr38_vgpr39
                                        ; implicit-def: $vgpr50_vgpr51
                                        ; implicit-def: $vgpr46_vgpr47
	s_xor_b64 exec, exec, s[6:7]
	s_cbranch_execz .LBB0_13
; %bb.12:
	s_add_u32 s0, s16, s10
	s_addc_u32 s1, s17, s11
	s_load_dwordx2 s[0:1], s[0:1], 0x0
	v_mov_b32_e32 v8, s13
	v_or_b32_e32 v74, 2, v68
	v_mul_lo_u32 v3, s21, v68
	v_mul_lo_u32 v2, s20, v68
	s_waitcnt lgkmcnt(0)
	v_mul_lo_u32 v6, s1, v72
	v_mul_lo_u32 v7, s0, v73
	v_mad_u64_u32 v[0:1], s[0:1], s0, v72, 0
	v_or_b32_e32 v75, 4, v68
	v_or_b32_e32 v78, 6, v68
	v_add3_u32 v1, v1, v7, v6
	v_lshlrev_b64 v[0:1], 4, v[0:1]
	v_or_b32_e32 v79, 8, v68
	v_add_co_u32_e64 v6, s[0:1], s12, v0
	v_addc_co_u32_e64 v7, s[0:1], v8, v1, s[0:1]
	v_lshlrev_b64 v[0:1], 4, v[4:5]
	v_mad_u64_u32 v[4:5], s[0:1], s20, v74, 0
	v_add_co_u32_e64 v8, s[0:1], v6, v0
	v_addc_co_u32_e64 v9, s[0:1], v7, v1, s[0:1]
	v_lshlrev_b64 v[0:1], 4, v[2:3]
	v_mov_b32_e32 v2, v5
	v_mad_u64_u32 v[2:3], s[0:1], s21, v74, v[2:3]
	v_mad_u64_u32 v[6:7], s[0:1], s20, v75, 0
	v_add_co_u32_e64 v17, s[0:1], v8, v0
	v_mov_b32_e32 v5, v2
	v_mov_b32_e32 v2, v7
	v_addc_co_u32_e64 v18, s[0:1], v9, v1, s[0:1]
	v_mad_u64_u32 v[2:3], s[0:1], s21, v75, v[2:3]
	v_lshlrev_b64 v[0:1], 4, v[4:5]
	v_mad_u64_u32 v[3:4], s[0:1], s20, v78, 0
	v_add_co_u32_e64 v56, s[0:1], v8, v0
	v_mov_b32_e32 v7, v2
	v_mov_b32_e32 v2, v4
	v_addc_co_u32_e64 v57, s[0:1], v9, v1, s[0:1]
	v_mad_u64_u32 v[4:5], s[0:1], s21, v78, v[2:3]
	v_lshlrev_b64 v[0:1], 4, v[6:7]
	v_mad_u64_u32 v[5:6], s[0:1], s20, v79, 0
	v_add_co_u32_e64 v58, s[0:1], v8, v0
	v_mov_b32_e32 v2, v6
	v_addc_co_u32_e64 v59, s[0:1], v9, v1, s[0:1]
	v_lshlrev_b64 v[0:1], 4, v[3:4]
	v_mad_u64_u32 v[2:3], s[0:1], s21, v79, v[2:3]
	v_or_b32_e32 v76, 10, v68
	v_mad_u64_u32 v[3:4], s[0:1], s20, v76, 0
	v_add_co_u32_e64 v60, s[0:1], v8, v0
	v_mov_b32_e32 v6, v2
	v_mov_b32_e32 v2, v4
	v_addc_co_u32_e64 v61, s[0:1], v9, v1, s[0:1]
	v_lshlrev_b64 v[0:1], 4, v[5:6]
	v_mad_u64_u32 v[4:5], s[0:1], s21, v76, v[2:3]
	v_or_b32_e32 v7, 12, v68
	v_mad_u64_u32 v[5:6], s[0:1], s20, v7, 0
	v_add_co_u32_e64 v62, s[0:1], v8, v0
	v_mov_b32_e32 v2, v6
	v_addc_co_u32_e64 v63, s[0:1], v9, v1, s[0:1]
	v_lshlrev_b64 v[0:1], 4, v[3:4]
	v_mad_u64_u32 v[2:3], s[0:1], s21, v7, v[2:3]
	v_or_b32_e32 v7, 14, v68
	v_mad_u64_u32 v[3:4], s[0:1], s20, v7, 0
	v_add_co_u32_e64 v64, s[0:1], v8, v0
	v_mov_b32_e32 v6, v2
	v_mov_b32_e32 v2, v4
	v_addc_co_u32_e64 v65, s[0:1], v9, v1, s[0:1]
	v_lshlrev_b64 v[0:1], 4, v[5:6]
	v_mad_u64_u32 v[4:5], s[0:1], s21, v7, v[2:3]
	v_or_b32_e32 v7, 16, v68
	;; [unrolled: 15-line block ×4, first 2 shown]
	v_mad_u64_u32 v[5:6], s[0:1], s20, v7, 0
	v_add_co_u32_e64 v86, s[0:1], v8, v0
	v_mov_b32_e32 v2, v6
	v_addc_co_u32_e64 v87, s[0:1], v9, v1, s[0:1]
	v_lshlrev_b64 v[0:1], 4, v[3:4]
	v_mad_u64_u32 v[2:3], s[0:1], s21, v7, v[2:3]
	v_add_co_u32_e64 v88, s[0:1], v8, v0
	v_mov_b32_e32 v6, v2
	v_addc_co_u32_e64 v89, s[0:1], v9, v1, s[0:1]
	v_lshlrev_b64 v[0:1], 4, v[5:6]
	v_add_co_u32_e64 v90, s[0:1], v8, v0
	v_addc_co_u32_e64 v91, s[0:1], v9, v1, s[0:1]
	global_load_dwordx4 v[44:47], v[17:18], off
	global_load_dwordx4 v[48:51], v[56:57], off
	;; [unrolled: 1-line block ×13, first 2 shown]
.LBB0_13:
	s_or_b64 exec, exec, s[6:7]
	s_waitcnt vmcnt(11)
	v_add_f64 v[17:18], v[48:49], v[44:45]
	v_mul_u32_u24_e32 v56, 26, v16
	s_waitcnt vmcnt(0)
	v_add_f64 v[57:58], v[52:53], v[48:49]
	s_mov_b32 s16, 0xe00740e9
	s_mov_b32 s17, 0x3fec55a7
	v_add_f64 v[59:60], v[50:51], -v[54:55]
	v_add_f64 v[61:62], v[40:41], v[36:37]
	s_mov_b32 s24, 0x4267c47c
	v_add_f64 v[16:17], v[36:37], v[17:18]
	s_mov_b32 s12, 0x1ea71119
	v_mul_f64 v[18:19], v[57:58], s[16:17]
	s_mov_b32 s6, 0xebaa3ed8
	s_mov_b32 s20, 0xb2365da1
	;; [unrolled: 1-line block ×5, first 2 shown]
	v_add_f64 v[16:17], v[28:29], v[16:17]
	s_mov_b32 s13, 0x3fe22d96
	s_mov_b32 s7, 0x3fbedb7d
	;; [unrolled: 1-line block ×5, first 2 shown]
	v_add_f64 v[63:64], v[38:39], -v[42:43]
	v_mul_f64 v[65:66], v[57:58], s[12:13]
	v_add_f64 v[16:17], v[20:21], v[16:17]
	v_mul_f64 v[80:81], v[57:58], s[6:7]
	v_mul_f64 v[82:83], v[57:58], s[20:21]
	;; [unrolled: 1-line block ×5, first 2 shown]
	v_fma_f64 v[92:93], v[59:60], s[24:25], v[18:19]
	s_mov_b32 s18, 0x42a4c3d2
	v_add_f64 v[16:17], v[8:9], v[16:17]
	s_mov_b32 s10, 0x66966769
	s_mov_b32 s44, 0x2ef20147
	s_mov_b32 s42, 0x24c2f84
	s_mov_b32 s38, 0x4bc48dbf
	s_mov_b32 s47, 0xbfddbe06
	s_mov_b32 s19, 0x3fea55e2
	s_mov_b32 s37, 0xbfea55e2
	v_add_f64 v[16:17], v[0:1], v[16:17]
	s_mov_b32 s11, 0x3fefc445
	s_mov_b32 s41, 0xbfefc445
	s_mov_b32 s45, 0x3fedeba7
	s_mov_b32 s23, 0xbfedeba7
	s_mov_b32 s43, 0x3fe5384d
	s_mov_b32 s29, 0xbfe5384d
	;; [unrolled: 8-line block ×3, first 2 shown]
	s_mov_b32 s34, s38
	v_add_f64 v[16:17], v[12:13], v[16:17]
	v_mul_f64 v[88:89], v[61:62], s[20:21]
	v_fma_f64 v[18:19], v[59:60], s[46:47], v[18:19]
	v_fma_f64 v[94:95], v[59:60], s[18:19], v[65:66]
	;; [unrolled: 1-line block ×6, first 2 shown]
	v_add_f64 v[16:17], v[24:25], v[16:17]
	v_fma_f64 v[82:83], v[59:60], s[22:23], v[82:83]
	v_fma_f64 v[100:101], v[59:60], s[42:43], v[84:85]
	;; [unrolled: 1-line block ×6, first 2 shown]
	v_add_f64 v[92:93], v[44:45], v[92:93]
	v_add_f64 v[16:17], v[32:33], v[16:17]
	v_mul_f64 v[90:91], v[61:62], s[30:31]
	v_fma_f64 v[104:105], v[63:64], s[44:45], v[88:89]
	v_add_f64 v[106:107], v[44:45], v[18:19]
	v_add_f64 v[94:95], v[44:45], v[94:95]
	;; [unrolled: 1-line block ×11, first 2 shown]
	v_fma_f64 v[86:87], v[63:64], s[36:37], v[86:87]
	v_lshl_add_u32 v69, v56, 3, 0
	v_add_f64 v[18:19], v[52:53], v[16:17]
	v_add_f64 v[16:17], v[44:45], v[57:58]
	v_fma_f64 v[44:45], v[63:64], s[22:23], v[88:89]
	v_add_f64 v[57:58], v[59:60], v[92:93]
	v_mul_f64 v[59:60], v[61:62], s[26:27]
	v_fma_f64 v[88:89], v[63:64], s[38:39], v[90:91]
	v_add_f64 v[92:93], v[104:105], v[94:95]
	v_fma_f64 v[90:91], v[63:64], s[34:35], v[90:91]
	v_mul_f64 v[94:95], v[61:62], s[6:7]
	v_mul_f64 v[61:62], v[61:62], s[16:17]
	v_add_f64 v[44:45], v[44:45], v[65:66]
	v_add_f64 v[65:66], v[32:33], v[28:29]
	v_fma_f64 v[104:105], v[63:64], s[28:29], v[59:60]
	v_fma_f64 v[59:60], v[63:64], s[42:43], v[59:60]
	v_add_f64 v[86:87], v[86:87], v[106:107]
	v_add_f64 v[88:89], v[88:89], v[96:97]
	;; [unrolled: 1-line block ×3, first 2 shown]
	v_fma_f64 v[90:91], v[63:64], s[40:41], v[94:95]
	v_add_f64 v[96:97], v[30:31], -v[34:35]
	v_mul_f64 v[106:107], v[65:66], s[6:7]
	v_add_f64 v[98:99], v[104:105], v[98:99]
	v_fma_f64 v[94:95], v[63:64], s[10:11], v[94:95]
	v_add_f64 v[59:60], v[59:60], v[82:83]
	v_fma_f64 v[82:83], v[63:64], s[46:47], v[61:62]
	v_mul_f64 v[104:105], v[65:66], s[30:31]
	v_fma_f64 v[61:62], v[63:64], s[24:25], v[61:62]
	v_add_f64 v[63:64], v[90:91], v[100:101]
	v_fma_f64 v[90:91], v[96:97], s[10:11], v[106:107]
	v_mul_f64 v[100:101], v[65:66], s[20:21]
	v_add_f64 v[84:85], v[94:95], v[84:85]
	v_fma_f64 v[94:95], v[96:97], s[40:41], v[106:107]
	v_add_f64 v[82:83], v[82:83], v[102:103]
	v_fma_f64 v[102:103], v[96:97], s[38:39], v[104:105]
	;; [unrolled: 2-line block ×4, first 2 shown]
	v_mul_f64 v[104:105], v[65:66], s[16:17]
	v_add_f64 v[86:87], v[94:95], v[86:87]
	v_fma_f64 v[94:95], v[96:97], s[44:45], v[100:101]
	v_mul_f64 v[100:101], v[65:66], s[12:13]
	v_add_f64 v[92:93], v[102:103], v[92:93]
	v_add_f64 v[44:45], v[61:62], v[44:45]
	;; [unrolled: 1-line block ×4, first 2 shown]
	v_fma_f64 v[90:91], v[96:97], s[46:47], v[104:105]
	v_fma_f64 v[102:103], v[96:97], s[24:25], v[104:105]
	v_add_f64 v[80:81], v[94:95], v[80:81]
	v_mul_f64 v[65:66], v[65:66], s[26:27]
	v_fma_f64 v[94:95], v[96:97], s[18:19], v[100:101]
	v_add_f64 v[104:105], v[22:23], -v[26:27]
	v_mul_f64 v[106:107], v[61:62], s[20:21]
	v_fma_f64 v[100:101], v[96:97], s[36:37], v[100:101]
	v_add_f64 v[90:91], v[90:91], v[98:99]
	v_add_f64 v[59:60], v[102:103], v[59:60]
	v_mul_f64 v[98:99], v[61:62], s[26:27]
	v_fma_f64 v[102:103], v[96:97], s[42:43], v[65:66]
	v_fma_f64 v[65:66], v[96:97], s[28:29], v[65:66]
	v_add_f64 v[63:64], v[94:95], v[63:64]
	v_fma_f64 v[94:95], v[104:105], s[44:45], v[106:107]
	v_add_f64 v[84:85], v[100:101], v[84:85]
	v_mul_f64 v[96:97], v[61:62], s[16:17]
	v_fma_f64 v[100:101], v[104:105], s[22:23], v[106:107]
	v_fma_f64 v[106:107], v[104:105], s[28:29], v[98:99]
	v_add_f64 v[82:83], v[102:103], v[82:83]
	v_add_f64 v[16:17], v[65:66], v[16:17]
	v_fma_f64 v[65:66], v[104:105], s[42:43], v[98:99]
	v_add_f64 v[57:58], v[94:95], v[57:58]
	v_mul_f64 v[94:95], v[61:62], s[6:7]
	v_fma_f64 v[98:99], v[104:105], s[46:47], v[96:97]
	v_add_f64 v[86:87], v[100:101], v[86:87]
	v_fma_f64 v[96:97], v[104:105], s[24:25], v[96:97]
	v_mul_f64 v[100:101], v[61:62], s[30:31]
	v_mul_f64 v[61:62], v[61:62], s[12:13]
	v_add_f64 v[44:45], v[65:66], v[44:45]
	v_add_f64 v[65:66], v[12:13], v[8:9]
	v_fma_f64 v[102:103], v[104:105], s[10:11], v[94:95]
	v_fma_f64 v[94:95], v[104:105], s[40:41], v[94:95]
	v_add_f64 v[92:93], v[106:107], v[92:93]
	v_add_f64 v[88:89], v[98:99], v[88:89]
	;; [unrolled: 1-line block ×3, first 2 shown]
	v_fma_f64 v[96:97], v[104:105], s[34:35], v[100:101]
	v_add_f64 v[98:99], v[10:11], -v[14:15]
	v_mul_f64 v[106:107], v[65:66], s[26:27]
	v_add_f64 v[90:91], v[102:103], v[90:91]
	v_fma_f64 v[100:101], v[104:105], s[38:39], v[100:101]
	v_add_f64 v[59:60], v[94:95], v[59:60]
	v_fma_f64 v[94:95], v[104:105], s[36:37], v[61:62]
	v_mul_f64 v[102:103], v[65:66], s[6:7]
	v_fma_f64 v[61:62], v[104:105], s[18:19], v[61:62]
	v_add_f64 v[63:64], v[96:97], v[63:64]
	v_fma_f64 v[96:97], v[98:99], s[42:43], v[106:107]
	v_mul_f64 v[104:105], v[65:66], s[12:13]
	v_add_f64 v[84:85], v[100:101], v[84:85]
	v_fma_f64 v[100:101], v[98:99], s[28:29], v[106:107]
	v_add_f64 v[82:83], v[94:95], v[82:83]
	v_fma_f64 v[94:95], v[98:99], s[40:41], v[102:103]
	;; [unrolled: 2-line block ×4, first 2 shown]
	v_mul_f64 v[102:103], v[65:66], s[30:31]
	v_add_f64 v[86:87], v[100:101], v[86:87]
	v_fma_f64 v[100:101], v[98:99], s[36:37], v[104:105]
	v_add_f64 v[92:93], v[94:95], v[92:93]
	v_mul_f64 v[94:95], v[65:66], s[16:17]
	v_add_f64 v[44:45], v[61:62], v[44:45]
	v_add_f64 v[61:62], v[4:5], v[0:1]
	;; [unrolled: 1-line block ×3, first 2 shown]
	v_fma_f64 v[96:97], v[98:99], s[34:35], v[102:103]
	v_mul_f64 v[65:66], v[65:66], s[20:21]
	v_add_f64 v[80:81], v[100:101], v[80:81]
	v_fma_f64 v[100:101], v[98:99], s[38:39], v[102:103]
	v_fma_f64 v[102:103], v[98:99], s[46:47], v[94:95]
	v_add_f64 v[104:105], v[2:3], -v[6:7]
	v_mul_f64 v[106:107], v[61:62], s[30:31]
	v_fma_f64 v[94:95], v[98:99], s[24:25], v[94:95]
	v_add_f64 v[90:91], v[96:97], v[90:91]
	v_fma_f64 v[96:97], v[98:99], s[44:45], v[65:66]
	v_fma_f64 v[65:66], v[98:99], s[22:23], v[65:66]
	v_mul_f64 v[98:99], v[61:62], s[16:17]
	v_add_f64 v[59:60], v[100:101], v[59:60]
	v_add_f64 v[63:64], v[102:103], v[63:64]
	v_fma_f64 v[100:101], v[104:105], s[38:39], v[106:107]
	v_add_f64 v[84:85], v[94:95], v[84:85]
	v_fma_f64 v[94:95], v[104:105], s[34:35], v[106:107]
	v_mul_f64 v[102:103], v[61:62], s[26:27]
	v_add_f64 v[82:83], v[96:97], v[82:83]
	v_add_f64 v[65:66], v[65:66], v[16:17]
	v_fma_f64 v[96:97], v[104:105], s[46:47], v[98:99]
	v_fma_f64 v[98:99], v[104:105], s[24:25], v[98:99]
	v_add_f64 v[57:58], v[100:101], v[57:58]
	v_mul_f64 v[100:101], v[61:62], s[12:13]
	v_add_f64 v[16:17], v[94:95], v[86:87]
	v_mul_f64 v[86:87], v[61:62], s[20:21]
	v_mul_f64 v[61:62], v[61:62], s[6:7]
	v_fma_f64 v[94:95], v[104:105], s[42:43], v[102:103]
	v_add_f64 v[92:93], v[96:97], v[92:93]
	v_add_f64 v[44:45], v[98:99], v[44:45]
	v_fma_f64 v[96:97], v[104:105], s[28:29], v[102:103]
	v_fma_f64 v[98:99], v[104:105], s[36:37], v[100:101]
	;; [unrolled: 1-line block ×7, first 2 shown]
	v_add_f64 v[88:89], v[94:95], v[88:89]
	v_add_f64 v[80:81], v[96:97], v[80:81]
	;; [unrolled: 1-line block ×8, first 2 shown]
	s_movk_i32 s0, 0x68
	v_mad_u32_u24 v77, v68, s0, v69
	s_movk_i32 s0, 0xffa0
	s_load_dwordx2 s[4:5], s[4:5], 0x0
	ds_write2_b64 v77, v[18:19], v[57:58] offset1:1
	ds_write2_b64 v77, v[92:93], v[88:89] offset0:2 offset1:3
	ds_write2_b64 v77, v[90:91], v[63:64] offset0:4 offset1:5
	;; [unrolled: 1-line block ×5, first 2 shown]
	ds_write_b64 v77, v[16:17] offset:96
	v_lshl_add_u32 v93, v68, 3, v69
	v_mad_i32_i24 v80, v68, s0, v77
	s_waitcnt lgkmcnt(0)
	; wave barrier
	s_waitcnt lgkmcnt(0)
	ds_read2_b64 v[56:59], v80 offset0:13 offset1:15
	ds_read2_b64 v[60:63], v80 offset0:17 offset1:19
	v_lshl_add_u32 v94, v74, 3, v69
	v_lshl_add_u32 v95, v75, 3, v69
	;; [unrolled: 1-line block ×3, first 2 shown]
	ds_read_b64 v[44:45], v93
	ds_read_b64 v[81:82], v94
	;; [unrolled: 1-line block ×4, first 2 shown]
	v_lshl_add_u32 v98, v79, 3, v69
	ds_read2_b64 v[64:67], v80 offset0:21 offset1:23
	v_lshl_add_u32 v97, v76, 3, v69
	ds_read_b64 v[87:88], v98
	ds_read_b64 v[89:90], v97
	v_cmp_eq_u32_e64 s[0:1], 0, v68
	s_and_saveexec_b64 s[48:49], s[0:1]
	s_cbranch_execz .LBB0_15
; %bb.14:
	ds_read2_b64 v[16:19], v69 offset0:12 offset1:25
.LBB0_15:
	s_or_b64 exec, exec, s[48:49]
	v_add_f64 v[91:92], v[50:51], v[46:47]
	v_add_f64 v[48:49], v[48:49], -v[52:53]
	v_add_f64 v[50:51], v[54:55], v[50:51]
	v_add_f64 v[36:37], v[36:37], -v[40:41]
	v_add_f64 v[28:29], v[28:29], -v[32:33]
	;; [unrolled: 1-line block ×5, first 2 shown]
	v_add_f64 v[91:92], v[38:39], v[91:92]
	v_mul_f64 v[52:53], v[48:49], s[46:47]
	v_mul_f64 v[99:100], v[48:49], s[36:37]
	;; [unrolled: 1-line block ×6, first 2 shown]
	v_add_f64 v[38:39], v[42:43], v[38:39]
	v_add_f64 v[91:92], v[30:31], v[91:92]
	v_mul_f64 v[40:41], v[36:37], s[36:37]
	v_fma_f64 v[101:102], v[50:51], s[12:13], v[99:100]
	v_fma_f64 v[99:100], v[50:51], s[12:13], -v[99:100]
	v_fma_f64 v[105:106], v[50:51], s[6:7], v[103:104]
	v_fma_f64 v[103:104], v[50:51], s[6:7], -v[103:104]
	;; [unrolled: 2-line block ×3, first 2 shown]
	v_add_f64 v[91:92], v[22:23], v[91:92]
	v_fma_f64 v[113:114], v[50:51], s[26:27], v[111:112]
	v_fma_f64 v[111:112], v[50:51], s[26:27], -v[111:112]
	v_fma_f64 v[115:116], v[50:51], s[30:31], v[48:49]
	v_fma_f64 v[48:49], v[50:51], s[30:31], -v[48:49]
	v_add_f64 v[101:102], v[46:47], v[101:102]
	v_add_f64 v[99:100], v[46:47], v[99:100]
	;; [unrolled: 1-line block ×12, first 2 shown]
	v_mul_f64 v[32:33], v[28:29], s[40:41]
	v_add_f64 v[22:23], v[26:27], v[22:23]
	v_mul_f64 v[24:25], v[20:21], s[22:23]
	v_add_f64 v[10:11], v[14:15], v[10:11]
	;; [unrolled: 2-line block ×4, first 2 shown]
	s_waitcnt lgkmcnt(0)
	; wave barrier
	s_waitcnt lgkmcnt(0)
	v_fma_f64 v[6:7], v[2:3], s[30:31], v[0:1]
	v_add_f64 v[91:92], v[14:15], v[91:92]
	v_fma_f64 v[14:15], v[10:11], s[26:27], v[12:13]
	v_fma_f64 v[12:13], v[10:11], s[26:27], -v[12:13]
	v_fma_f64 v[0:1], v[2:3], s[30:31], -v[0:1]
	v_add_f64 v[91:92], v[26:27], v[91:92]
	v_fma_f64 v[26:27], v[22:23], s[20:21], v[24:25]
	v_fma_f64 v[24:25], v[22:23], s[20:21], -v[24:25]
	v_add_f64 v[91:92], v[34:35], v[91:92]
	v_fma_f64 v[34:35], v[30:31], s[6:7], v[32:33]
	;; [unrolled: 3-line block ×4, first 2 shown]
	v_fma_f64 v[52:53], v[50:51], s[16:17], -v[52:53]
	v_add_f64 v[54:55], v[46:47], v[54:55]
	v_add_f64 v[52:53], v[46:47], v[52:53]
	;; [unrolled: 1-line block ×3, first 2 shown]
	v_mul_f64 v[48:49], v[36:37], s[22:23]
	v_add_f64 v[42:43], v[42:43], v[54:55]
	v_add_f64 v[40:41], v[40:41], v[52:53]
	v_mul_f64 v[52:53], v[36:37], s[34:35]
	v_fma_f64 v[50:51], v[38:39], s[20:21], v[48:49]
	v_fma_f64 v[48:49], v[38:39], s[20:21], -v[48:49]
	v_add_f64 v[34:35], v[34:35], v[42:43]
	v_add_f64 v[32:33], v[32:33], v[40:41]
	v_fma_f64 v[54:55], v[38:39], s[30:31], v[52:53]
	v_fma_f64 v[52:53], v[38:39], s[30:31], -v[52:53]
	v_add_f64 v[48:49], v[48:49], v[99:100]
	v_mul_f64 v[99:100], v[36:37], s[42:43]
	v_add_f64 v[50:51], v[50:51], v[101:102]
	v_mul_f64 v[42:43], v[28:29], s[44:45]
	v_add_f64 v[26:27], v[26:27], v[34:35]
	v_add_f64 v[24:25], v[24:25], v[32:33]
	;; [unrolled: 1-line block ×4, first 2 shown]
	v_mul_f64 v[103:104], v[36:37], s[10:11]
	v_fma_f64 v[101:102], v[38:39], s[26:27], v[99:100]
	v_fma_f64 v[99:100], v[38:39], s[26:27], -v[99:100]
	v_mul_f64 v[36:37], v[36:37], s[24:25]
	v_mul_f64 v[34:35], v[20:21], s[24:25]
	v_add_f64 v[14:15], v[14:15], v[26:27]
	v_add_f64 v[12:13], v[12:13], v[24:25]
	v_mul_f64 v[26:27], v[8:9], s[36:37]
	v_fma_f64 v[105:106], v[38:39], s[6:7], v[103:104]
	v_fma_f64 v[103:104], v[38:39], s[6:7], -v[103:104]
	v_add_f64 v[99:100], v[99:100], v[107:108]
	v_fma_f64 v[107:108], v[38:39], s[16:17], v[36:37]
	v_fma_f64 v[36:37], v[38:39], s[16:17], -v[36:37]
	v_mul_f64 v[38:39], v[28:29], s[34:35]
	v_add_f64 v[101:102], v[101:102], v[109:110]
	v_add_f64 v[6:7], v[6:7], v[14:15]
	;; [unrolled: 1-line block ×3, first 2 shown]
	v_mul_f64 v[14:15], v[4:5], s[28:29]
	v_add_f64 v[0:1], v[0:1], v[12:13]
	v_add_f64 v[107:108], v[107:108], v[115:116]
	;; [unrolled: 1-line block ×3, first 2 shown]
	v_fma_f64 v[40:41], v[30:31], s[30:31], v[38:39]
	v_fma_f64 v[38:39], v[30:31], s[30:31], -v[38:39]
	v_fma_f64 v[46:47], v[30:31], s[20:21], v[42:43]
	v_fma_f64 v[42:43], v[30:31], s[20:21], -v[42:43]
	v_add_f64 v[103:104], v[103:104], v[111:112]
	v_add_f64 v[40:41], v[40:41], v[50:51]
	;; [unrolled: 1-line block ×3, first 2 shown]
	v_mul_f64 v[48:49], v[28:29], s[24:25]
	v_add_f64 v[42:43], v[42:43], v[52:53]
	v_mul_f64 v[52:53], v[28:29], s[36:37]
	v_mul_f64 v[28:29], v[28:29], s[28:29]
	v_add_f64 v[46:47], v[46:47], v[54:55]
	v_fma_f64 v[50:51], v[30:31], s[16:17], v[48:49]
	v_fma_f64 v[48:49], v[30:31], s[16:17], -v[48:49]
	v_fma_f64 v[54:55], v[30:31], s[12:13], v[52:53]
	v_fma_f64 v[52:53], v[30:31], s[12:13], -v[52:53]
	v_add_f64 v[50:51], v[50:51], v[101:102]
	v_add_f64 v[48:49], v[48:49], v[99:100]
	v_fma_f64 v[99:100], v[30:31], s[26:27], v[28:29]
	v_fma_f64 v[28:29], v[30:31], s[26:27], -v[28:29]
	v_mul_f64 v[30:31], v[20:21], s[42:43]
	v_add_f64 v[54:55], v[54:55], v[105:106]
	v_add_f64 v[52:53], v[52:53], v[103:104]
	v_add_f64 v[99:100], v[99:100], v[107:108]
	v_add_f64 v[28:29], v[28:29], v[36:37]
	v_fma_f64 v[32:33], v[22:23], s[26:27], v[30:31]
	v_fma_f64 v[30:31], v[22:23], s[26:27], -v[30:31]
	v_fma_f64 v[36:37], v[22:23], s[16:17], v[34:35]
	v_fma_f64 v[34:35], v[22:23], s[16:17], -v[34:35]
	v_add_f64 v[32:33], v[32:33], v[40:41]
	v_add_f64 v[30:31], v[30:31], v[38:39]
	v_mul_f64 v[38:39], v[20:21], s[40:41]
	v_add_f64 v[34:35], v[34:35], v[42:43]
	v_mul_f64 v[42:43], v[20:21], s[38:39]
	v_mul_f64 v[20:21], v[20:21], s[18:19]
	v_add_f64 v[36:37], v[36:37], v[46:47]
	v_fma_f64 v[40:41], v[22:23], s[6:7], v[38:39]
	v_fma_f64 v[38:39], v[22:23], s[6:7], -v[38:39]
	v_fma_f64 v[46:47], v[22:23], s[30:31], v[42:43]
	v_fma_f64 v[42:43], v[22:23], s[30:31], -v[42:43]
	v_add_f64 v[40:41], v[40:41], v[50:51]
	v_add_f64 v[38:39], v[38:39], v[48:49]
	v_fma_f64 v[48:49], v[22:23], s[12:13], v[20:21]
	v_fma_f64 v[20:21], v[22:23], s[12:13], -v[20:21]
	v_mul_f64 v[22:23], v[8:9], s[10:11]
	v_add_f64 v[46:47], v[46:47], v[54:55]
	v_add_f64 v[42:43], v[42:43], v[52:53]
	v_add_f64 v[48:49], v[48:49], v[99:100]
	v_add_f64 v[20:21], v[20:21], v[28:29]
	v_fma_f64 v[24:25], v[10:11], s[6:7], v[22:23]
	v_fma_f64 v[22:23], v[10:11], s[6:7], -v[22:23]
	v_fma_f64 v[28:29], v[10:11], s[12:13], v[26:27]
	v_fma_f64 v[26:27], v[10:11], s[12:13], -v[26:27]
	v_add_f64 v[24:25], v[24:25], v[32:33]
	v_add_f64 v[22:23], v[22:23], v[30:31]
	;; [unrolled: 24-line block ×3, first 2 shown]
	v_mul_f64 v[22:23], v[4:5], s[18:19]
	v_add_f64 v[14:15], v[14:15], v[26:27]
	v_mul_f64 v[26:27], v[4:5], s[22:23]
	v_mul_f64 v[4:5], v[4:5], s[10:11]
	v_add_f64 v[20:21], v[20:21], v[28:29]
	v_fma_f64 v[24:25], v[2:3], s[12:13], v[22:23]
	v_fma_f64 v[22:23], v[2:3], s[12:13], -v[22:23]
	v_fma_f64 v[28:29], v[2:3], s[20:21], v[26:27]
	v_fma_f64 v[26:27], v[2:3], s[20:21], -v[26:27]
	v_add_f64 v[24:25], v[24:25], v[32:33]
	v_add_f64 v[22:23], v[22:23], v[30:31]
	v_fma_f64 v[30:31], v[2:3], s[6:7], v[4:5]
	v_fma_f64 v[2:3], v[2:3], s[6:7], -v[4:5]
	v_add_f64 v[28:29], v[28:29], v[36:37]
	v_add_f64 v[26:27], v[26:27], v[34:35]
	;; [unrolled: 1-line block ×4, first 2 shown]
	ds_write2_b64 v77, v[91:92], v[6:7] offset1:1
	ds_write2_b64 v77, v[12:13], v[20:21] offset0:2 offset1:3
	ds_write2_b64 v77, v[24:25], v[28:29] offset0:4 offset1:5
	;; [unrolled: 1-line block ×5, first 2 shown]
	ds_write_b64 v77, v[0:1] offset:96
	s_waitcnt lgkmcnt(0)
	; wave barrier
	s_waitcnt lgkmcnt(0)
	ds_read_b64 v[22:23], v93
	ds_read2_b64 v[4:7], v80 offset0:13 offset1:15
	ds_read2_b64 v[8:11], v80 offset0:17 offset1:19
	ds_read_b64 v[24:25], v94
	ds_read_b64 v[26:27], v95
	;; [unrolled: 1-line block ×4, first 2 shown]
	ds_read2_b64 v[12:15], v80 offset0:21 offset1:23
	ds_read_b64 v[32:33], v97
	v_mov_b32_e32 v20, 0
	v_mov_b32_e32 v21, 0
	s_and_saveexec_b64 s[6:7], s[0:1]
	s_cbranch_execz .LBB0_17
; %bb.16:
	ds_read2_b64 v[0:3], v69 offset0:12 offset1:25
	v_mov_b32_e32 v20, 12
	v_mov_b32_e32 v21, 0
.LBB0_17:
	s_or_b64 exec, exec, s[6:7]
	s_and_saveexec_b64 s[0:1], vcc
	s_cbranch_execz .LBB0_20
; %bb.18:
	v_mov_b32_e32 v77, 0
	v_lshlrev_b64 v[34:35], 4, v[76:77]
	v_mov_b32_e32 v21, s9
	v_add_co_u32_e32 v42, vcc, s8, v34
	v_mov_b32_e32 v80, v77
	v_addc_co_u32_e32 v43, vcc, v21, v35, vcc
	v_lshlrev_b64 v[34:35], 4, v[79:80]
	v_mov_b32_e32 v79, v77
	v_add_co_u32_e32 v46, vcc, s8, v34
	v_addc_co_u32_e32 v47, vcc, v21, v35, vcc
	global_load_dwordx4 v[34:37], v[42:43], off
	global_load_dwordx4 v[38:41], v[46:47], off
	v_lshlrev_b64 v[42:43], 4, v[78:79]
	v_mov_b32_e32 v76, v77
	v_add_co_u32_e32 v42, vcc, s8, v42
	v_lshlrev_b64 v[46:47], 4, v[75:76]
	v_addc_co_u32_e32 v43, vcc, v21, v43, vcc
	v_add_co_u32_e32 v54, vcc, s8, v46
	v_mov_b32_e32 v75, v77
	v_addc_co_u32_e32 v55, vcc, v21, v47, vcc
	global_load_dwordx4 v[46:49], v[42:43], off
	global_load_dwordx4 v[50:53], v[54:55], off
	v_lshlrev_b64 v[42:43], 4, v[74:75]
	v_mov_b32_e32 v69, v77
	v_add_co_u32_e32 v42, vcc, s8, v42
	v_addc_co_u32_e32 v43, vcc, v21, v43, vcc
	global_load_dwordx4 v[91:94], v[42:43], off
	v_lshlrev_b64 v[42:43], 4, v[68:69]
	s_mov_b32 s0, 0x4ec4ec4f
	v_add_co_u32_e32 v42, vcc, s8, v42
	v_addc_co_u32_e32 v43, vcc, v21, v43, vcc
	global_load_dwordx4 v[74:77], v[42:43], off
	v_mul_hi_u32 v21, v68, s0
	v_mul_lo_u32 v69, s5, v72
	v_mul_lo_u32 v78, s4, v73
	v_mad_u64_u32 v[54:55], s[4:5], s4, v72, 0
	v_lshrrev_b32_e32 v21, 2, v21
	v_mul_lo_u32 v21, v21, 13
	v_add3_u32 v55, v55, v78, v69
	v_lshlrev_b64 v[78:79], 4, v[54:55]
	v_mov_b32_e32 v103, s15
	v_sub_u32_e32 v80, v68, v21
	v_mad_u64_u32 v[42:43], s[6:7], s2, v80, 0
	v_mov_b32_e32 v21, v43
	s_waitcnt lgkmcnt(8)
	v_mad_u64_u32 v[72:73], s[4:5], s3, v80, v[21:22]
	v_mov_b32_e32 v43, v72
	s_waitcnt vmcnt(5)
	v_mul_f64 v[54:55], v[66:67], v[36:37]
	s_waitcnt lgkmcnt(1)
	v_mul_f64 v[36:37], v[14:15], v[36:37]
	s_waitcnt vmcnt(4)
	v_mul_f64 v[72:73], v[64:65], v[40:41]
	v_mul_f64 v[40:41], v[12:13], v[40:41]
	v_fma_f64 v[14:15], v[14:15], v[34:35], v[54:55]
	v_fma_f64 v[34:35], v[66:67], v[34:35], -v[36:37]
	v_fma_f64 v[12:13], v[12:13], v[38:39], v[72:73]
	v_fma_f64 v[36:37], v[64:65], v[38:39], -v[40:41]
	v_add_u32_e32 v66, 13, v80
	s_waitcnt vmcnt(3)
	v_mul_f64 v[95:96], v[62:63], v[48:49]
	v_mul_f64 v[48:49], v[10:11], v[48:49]
	s_waitcnt vmcnt(2)
	v_mul_f64 v[97:98], v[60:61], v[52:53]
	v_mul_f64 v[52:53], v[8:9], v[52:53]
	v_add_f64 v[12:13], v[30:31], -v[12:13]
	s_waitcnt vmcnt(1)
	v_mul_f64 v[99:100], v[58:59], v[93:94]
	v_mul_f64 v[93:94], v[6:7], v[93:94]
	v_fma_f64 v[38:39], v[10:11], v[46:47], v[95:96]
	v_fma_f64 v[40:41], v[62:63], v[46:47], -v[48:49]
	v_fma_f64 v[46:47], v[8:9], v[50:51], v[97:98]
	v_fma_f64 v[48:49], v[60:61], v[50:51], -v[52:53]
	v_add_f64 v[10:11], v[87:88], -v[36:37]
	s_waitcnt vmcnt(0)
	v_mul_f64 v[101:102], v[56:57], v[76:77]
	v_mul_f64 v[76:77], v[4:5], v[76:77]
	v_fma_f64 v[50:51], v[6:7], v[91:92], v[99:100]
	v_fma_f64 v[52:53], v[58:59], v[91:92], -v[93:94]
	v_add_f64 v[6:7], v[89:90], -v[34:35]
	v_add_f64 v[36:37], v[28:29], -v[38:39]
	v_add_f64 v[34:35], v[85:86], -v[40:41]
	v_add_f64 v[40:41], v[26:27], -v[46:47]
	v_fma_f64 v[4:5], v[4:5], v[74:75], v[101:102]
	v_fma_f64 v[54:55], v[56:57], v[74:75], -v[76:77]
	v_add_f64 v[38:39], v[83:84], -v[48:49]
	v_add_f64 v[48:49], v[24:25], -v[50:51]
	;; [unrolled: 1-line block ×3, first 2 shown]
	s_waitcnt lgkmcnt(0)
	v_add_f64 v[8:9], v[32:33], -v[14:15]
	v_add_co_u32_e32 v14, vcc, s14, v78
	v_add_f64 v[52:53], v[22:23], -v[4:5]
	v_add_f64 v[50:51], v[44:45], -v[54:55]
	v_lshlrev_b64 v[4:5], 4, v[70:71]
	v_fma_f64 v[64:65], v[24:25], 2.0, -v[48:49]
	v_addc_co_u32_e32 v15, vcc, v103, v79, vcc
	v_add_co_u32_e32 v4, vcc, v14, v4
	v_fma_f64 v[23:24], v[22:23], 2.0, -v[52:53]
	v_fma_f64 v[21:22], v[44:45], 2.0, -v[50:51]
	v_add_u32_e32 v44, 2, v68
	v_mul_hi_u32 v25, v44, s0
	v_fma_f64 v[60:61], v[28:29], 2.0, -v[36:37]
	v_fma_f64 v[28:29], v[26:27], 2.0, -v[40:41]
	;; [unrolled: 1-line block ×3, first 2 shown]
	v_lshrrev_b32_e32 v45, 2, v25
	v_addc_co_u32_e32 v5, vcc, v15, v5, vcc
	v_lshlrev_b64 v[14:15], 4, v[42:43]
	v_mad_u64_u32 v[42:43], s[4:5], s2, v66, 0
	v_mul_lo_u32 v67, v45, 13
	v_add_co_u32_e32 v14, vcc, v4, v14
	v_mov_b32_e32 v25, v43
	v_sub_u32_e32 v43, v44, v67
	v_mad_u64_u32 v[44:45], s[4:5], v45, 26, v[43:44]
	v_addc_co_u32_e32 v15, vcc, v5, v15, vcc
	global_store_dwordx4 v[14:15], v[21:24], off
	v_mad_u64_u32 v[66:67], s[4:5], s3, v66, v[25:26]
	v_add_u32_e32 v23, 4, v68
	v_mul_hi_u32 v24, v23, s0
	v_mad_u64_u32 v[69:70], s[4:5], s2, v44, 0
	v_mov_b32_e32 v43, v66
	v_lshrrev_b32_e32 v24, 2, v24
	v_lshlrev_b64 v[14:15], 4, v[42:43]
	v_mov_b32_e32 v21, v70
	v_mul_lo_u32 v42, v24, 13
	v_mad_u64_u32 v[21:22], s[4:5], s3, v44, v[21:22]
	v_add_u32_e32 v25, 13, v44
	v_sub_u32_e32 v23, v23, v42
	v_mov_b32_e32 v70, v21
	v_mad_u64_u32 v[21:22], s[4:5], s2, v25, 0
	v_mad_u64_u32 v[23:24], s[4:5], v24, 26, v[23:24]
	v_fma_f64 v[62:63], v[81:82], 2.0, -v[46:47]
	v_add_co_u32_e32 v14, vcc, v4, v14
	v_addc_co_u32_e32 v15, vcc, v5, v15, vcc
	v_mad_u64_u32 v[24:25], s[4:5], s3, v25, v[22:23]
	global_store_dwordx4 v[14:15], v[50:53], off
	v_lshlrev_b64 v[14:15], 4, v[69:70]
	v_mad_u64_u32 v[42:43], s[4:5], s2, v23, 0
	v_add_co_u32_e32 v14, vcc, v4, v14
	v_addc_co_u32_e32 v15, vcc, v5, v15, vcc
	v_mov_b32_e32 v22, v24
	global_store_dwordx4 v[14:15], v[62:65], off
	v_lshlrev_b64 v[14:15], 4, v[21:22]
	v_mov_b32_e32 v21, v43
	v_add_u32_e32 v24, 6, v68
	v_mad_u64_u32 v[21:22], s[4:5], s3, v23, v[21:22]
	v_mul_hi_u32 v25, v24, s0
	v_add_co_u32_e32 v14, vcc, v4, v14
	v_addc_co_u32_e32 v15, vcc, v5, v15, vcc
	v_mov_b32_e32 v43, v21
	v_lshrrev_b32_e32 v25, 2, v25
	global_store_dwordx4 v[14:15], v[46:49], off
	v_lshlrev_b64 v[14:15], 4, v[42:43]
	v_add_u32_e32 v42, 13, v23
	v_mul_lo_u32 v23, v25, 13
	v_mad_u64_u32 v[21:22], s[4:5], s2, v42, 0
	v_add_co_u32_e32 v14, vcc, v4, v14
	v_sub_u32_e32 v23, v24, v23
	v_mad_u64_u32 v[23:24], s[4:5], v25, 26, v[23:24]
	v_addc_co_u32_e32 v15, vcc, v5, v15, vcc
	v_mad_u64_u32 v[24:25], s[4:5], s3, v42, v[22:23]
	v_mad_u64_u32 v[42:43], s[4:5], s2, v23, 0
	v_mov_b32_e32 v22, v24
	v_add_u32_e32 v24, 8, v68
	v_mul_hi_u32 v25, v24, s0
	global_store_dwordx4 v[14:15], v[26:29], off
	v_lshlrev_b64 v[14:15], 4, v[21:22]
	v_mov_b32_e32 v21, v43
	v_lshrrev_b32_e32 v25, 2, v25
	v_mad_u64_u32 v[21:22], s[4:5], s3, v23, v[21:22]
	v_add_u32_e32 v26, 13, v23
	v_mul_lo_u32 v23, v25, 13
	v_mov_b32_e32 v43, v21
	v_mad_u64_u32 v[21:22], s[4:5], s2, v26, 0
	v_sub_u32_e32 v23, v24, v23
	v_mad_u64_u32 v[23:24], s[4:5], v25, 26, v[23:24]
	v_fma_f64 v[58:59], v[85:86], 2.0, -v[34:35]
	v_add_co_u32_e32 v14, vcc, v4, v14
	v_addc_co_u32_e32 v15, vcc, v5, v15, vcc
	v_mad_u64_u32 v[24:25], s[4:5], s3, v26, v[22:23]
	global_store_dwordx4 v[14:15], v[38:41], off
	v_lshlrev_b64 v[14:15], 4, v[42:43]
	v_mad_u64_u32 v[25:26], s[4:5], s2, v23, 0
	v_add_co_u32_e32 v14, vcc, v4, v14
	v_addc_co_u32_e32 v15, vcc, v5, v15, vcc
	v_mov_b32_e32 v22, v24
	global_store_dwordx4 v[14:15], v[58:61], off
	v_lshlrev_b64 v[14:15], 4, v[21:22]
	v_mov_b32_e32 v21, v26
	v_mad_u64_u32 v[21:22], s[4:5], s3, v23, v[21:22]
	v_add_co_u32_e32 v14, vcc, v4, v14
	v_fma_f64 v[56:57], v[32:33], 2.0, -v[8:9]
	v_fma_f64 v[32:33], v[30:31], 2.0, -v[12:13]
	;; [unrolled: 1-line block ×3, first 2 shown]
	v_addc_co_u32_e32 v15, vcc, v5, v15, vcc
	v_mov_b32_e32 v26, v21
	v_add_u32_e32 v24, 10, v68
	global_store_dwordx4 v[14:15], v[34:37], off
	v_lshlrev_b64 v[14:15], 4, v[25:26]
	v_mul_hi_u32 v25, v24, s0
	v_add_u32_e32 v23, 13, v23
	v_mad_u64_u32 v[21:22], s[0:1], s2, v23, 0
	v_lshrrev_b32_e32 v25, 2, v25
	v_add_co_u32_e32 v14, vcc, v4, v14
	v_mul_lo_u32 v26, v25, 13
	v_addc_co_u32_e32 v15, vcc, v5, v15, vcc
	global_store_dwordx4 v[14:15], v[30:33], off
	v_mov_b32_e32 v14, v22
	v_mad_u64_u32 v[14:15], s[0:1], s3, v23, v[14:15]
	v_sub_u32_e32 v15, v24, v26
	v_mad_u64_u32 v[23:24], s[0:1], v25, 26, v[15:16]
	v_mov_b32_e32 v22, v14
	v_lshlrev_b64 v[14:15], 4, v[21:22]
	v_mad_u64_u32 v[21:22], s[0:1], s2, v23, 0
	v_fma_f64 v[54:55], v[89:90], 2.0, -v[6:7]
	v_add_co_u32_e32 v14, vcc, v4, v14
	v_mad_u64_u32 v[24:25], s[0:1], s3, v23, v[22:23]
	v_add_u32_e32 v23, 13, v23
	v_mad_u64_u32 v[25:26], s[0:1], s2, v23, 0
	v_addc_co_u32_e32 v15, vcc, v5, v15, vcc
	global_store_dwordx4 v[14:15], v[10:13], off
	v_mov_b32_e32 v22, v24
	v_mov_b32_e32 v12, v26
	v_mad_u64_u32 v[12:13], s[0:1], s3, v23, v[12:13]
	v_lshlrev_b64 v[10:11], 4, v[21:22]
	v_add_co_u32_e32 v10, vcc, v4, v10
	v_addc_co_u32_e32 v11, vcc, v5, v11, vcc
	v_mov_b32_e32 v26, v12
	global_store_dwordx4 v[10:11], v[54:57], off
	v_lshlrev_b64 v[10:11], 4, v[25:26]
	v_add_co_u32_e32 v10, vcc, v4, v10
	v_addc_co_u32_e32 v11, vcc, v5, v11, vcc
	global_store_dwordx4 v[10:11], v[6:9], off
	s_nop 0
	v_add_u32_e32 v6, 12, v68
	v_cmp_gt_u32_e32 vcc, 13, v6
	s_and_b64 exec, exec, vcc
	s_cbranch_execz .LBB0_20
; %bb.19:
	v_lshlrev_b32_e32 v7, 4, v20
	global_load_dwordx4 v[7:10], v7, s[8:9]
	v_mad_u64_u32 v[13:14], s[0:1], s2, v6, 0
	v_add_u32_e32 v20, 25, v68
	s_waitcnt vmcnt(0)
	v_mul_f64 v[11:12], v[2:3], v[9:10]
	v_mul_f64 v[9:10], v[18:19], v[9:10]
	v_fma_f64 v[11:12], v[18:19], v[7:8], -v[11:12]
	v_fma_f64 v[2:3], v[2:3], v[7:8], v[9:10]
	v_mov_b32_e32 v7, v14
	v_mad_u64_u32 v[14:15], s[0:1], s3, v6, v[7:8]
	v_mad_u64_u32 v[18:19], s[0:1], s2, v20, 0
	v_lshlrev_b64 v[14:15], 4, v[13:14]
	v_add_f64 v[6:7], v[16:17], -v[11:12]
	v_add_f64 v[8:9], v[0:1], -v[2:3]
	v_mov_b32_e32 v10, v19
	v_mad_u64_u32 v[2:3], s[0:1], s3, v20, v[10:11]
	v_mov_b32_e32 v19, v2
	v_fma_f64 v[10:11], v[16:17], 2.0, -v[6:7]
	v_fma_f64 v[12:13], v[0:1], 2.0, -v[8:9]
	v_lshlrev_b64 v[2:3], 4, v[18:19]
	v_add_co_u32_e32 v0, vcc, v4, v14
	v_addc_co_u32_e32 v1, vcc, v5, v15, vcc
	v_add_co_u32_e32 v2, vcc, v4, v2
	v_addc_co_u32_e32 v3, vcc, v5, v3, vcc
	global_store_dwordx4 v[0:1], v[10:13], off
	global_store_dwordx4 v[2:3], v[6:9], off
.LBB0_20:
	s_endpgm
	.section	.rodata,"a",@progbits
	.p2align	6, 0x0
	.amdhsa_kernel fft_rtc_fwd_len26_factors_13_2_wgs_64_tpt_2_halfLds_dp_op_CI_CI_sbrr_dirReg
		.amdhsa_group_segment_fixed_size 0
		.amdhsa_private_segment_fixed_size 0
		.amdhsa_kernarg_size 104
		.amdhsa_user_sgpr_count 6
		.amdhsa_user_sgpr_private_segment_buffer 1
		.amdhsa_user_sgpr_dispatch_ptr 0
		.amdhsa_user_sgpr_queue_ptr 0
		.amdhsa_user_sgpr_kernarg_segment_ptr 1
		.amdhsa_user_sgpr_dispatch_id 0
		.amdhsa_user_sgpr_flat_scratch_init 0
		.amdhsa_user_sgpr_private_segment_size 0
		.amdhsa_uses_dynamic_stack 0
		.amdhsa_system_sgpr_private_segment_wavefront_offset 0
		.amdhsa_system_sgpr_workgroup_id_x 1
		.amdhsa_system_sgpr_workgroup_id_y 0
		.amdhsa_system_sgpr_workgroup_id_z 0
		.amdhsa_system_sgpr_workgroup_info 0
		.amdhsa_system_vgpr_workitem_id 0
		.amdhsa_next_free_vgpr 117
		.amdhsa_next_free_sgpr 50
		.amdhsa_reserve_vcc 1
		.amdhsa_reserve_flat_scratch 0
		.amdhsa_float_round_mode_32 0
		.amdhsa_float_round_mode_16_64 0
		.amdhsa_float_denorm_mode_32 3
		.amdhsa_float_denorm_mode_16_64 3
		.amdhsa_dx10_clamp 1
		.amdhsa_ieee_mode 1
		.amdhsa_fp16_overflow 0
		.amdhsa_exception_fp_ieee_invalid_op 0
		.amdhsa_exception_fp_denorm_src 0
		.amdhsa_exception_fp_ieee_div_zero 0
		.amdhsa_exception_fp_ieee_overflow 0
		.amdhsa_exception_fp_ieee_underflow 0
		.amdhsa_exception_fp_ieee_inexact 0
		.amdhsa_exception_int_div_zero 0
	.end_amdhsa_kernel
	.text
.Lfunc_end0:
	.size	fft_rtc_fwd_len26_factors_13_2_wgs_64_tpt_2_halfLds_dp_op_CI_CI_sbrr_dirReg, .Lfunc_end0-fft_rtc_fwd_len26_factors_13_2_wgs_64_tpt_2_halfLds_dp_op_CI_CI_sbrr_dirReg
                                        ; -- End function
	.section	.AMDGPU.csdata,"",@progbits
; Kernel info:
; codeLenInByte = 7672
; NumSgprs: 54
; NumVgprs: 117
; ScratchSize: 0
; MemoryBound: 1
; FloatMode: 240
; IeeeMode: 1
; LDSByteSize: 0 bytes/workgroup (compile time only)
; SGPRBlocks: 6
; VGPRBlocks: 29
; NumSGPRsForWavesPerEU: 54
; NumVGPRsForWavesPerEU: 117
; Occupancy: 2
; WaveLimiterHint : 1
; COMPUTE_PGM_RSRC2:SCRATCH_EN: 0
; COMPUTE_PGM_RSRC2:USER_SGPR: 6
; COMPUTE_PGM_RSRC2:TRAP_HANDLER: 0
; COMPUTE_PGM_RSRC2:TGID_X_EN: 1
; COMPUTE_PGM_RSRC2:TGID_Y_EN: 0
; COMPUTE_PGM_RSRC2:TGID_Z_EN: 0
; COMPUTE_PGM_RSRC2:TIDIG_COMP_CNT: 0
	.type	__hip_cuid_6516b501cd06cc70,@object ; @__hip_cuid_6516b501cd06cc70
	.section	.bss,"aw",@nobits
	.globl	__hip_cuid_6516b501cd06cc70
__hip_cuid_6516b501cd06cc70:
	.byte	0                               ; 0x0
	.size	__hip_cuid_6516b501cd06cc70, 1

	.ident	"AMD clang version 19.0.0git (https://github.com/RadeonOpenCompute/llvm-project roc-6.4.0 25133 c7fe45cf4b819c5991fe208aaa96edf142730f1d)"
	.section	".note.GNU-stack","",@progbits
	.addrsig
	.addrsig_sym __hip_cuid_6516b501cd06cc70
	.amdgpu_metadata
---
amdhsa.kernels:
  - .args:
      - .actual_access:  read_only
        .address_space:  global
        .offset:         0
        .size:           8
        .value_kind:     global_buffer
      - .offset:         8
        .size:           8
        .value_kind:     by_value
      - .actual_access:  read_only
        .address_space:  global
        .offset:         16
        .size:           8
        .value_kind:     global_buffer
      - .actual_access:  read_only
        .address_space:  global
        .offset:         24
        .size:           8
        .value_kind:     global_buffer
      - .actual_access:  read_only
        .address_space:  global
        .offset:         32
        .size:           8
        .value_kind:     global_buffer
      - .offset:         40
        .size:           8
        .value_kind:     by_value
      - .actual_access:  read_only
        .address_space:  global
        .offset:         48
        .size:           8
        .value_kind:     global_buffer
      - .actual_access:  read_only
        .address_space:  global
        .offset:         56
        .size:           8
        .value_kind:     global_buffer
      - .offset:         64
        .size:           4
        .value_kind:     by_value
      - .actual_access:  read_only
        .address_space:  global
        .offset:         72
        .size:           8
        .value_kind:     global_buffer
      - .actual_access:  read_only
        .address_space:  global
        .offset:         80
        .size:           8
        .value_kind:     global_buffer
      - .actual_access:  read_only
        .address_space:  global
        .offset:         88
        .size:           8
        .value_kind:     global_buffer
      - .actual_access:  write_only
        .address_space:  global
        .offset:         96
        .size:           8
        .value_kind:     global_buffer
    .group_segment_fixed_size: 0
    .kernarg_segment_align: 8
    .kernarg_segment_size: 104
    .language:       OpenCL C
    .language_version:
      - 2
      - 0
    .max_flat_workgroup_size: 64
    .name:           fft_rtc_fwd_len26_factors_13_2_wgs_64_tpt_2_halfLds_dp_op_CI_CI_sbrr_dirReg
    .private_segment_fixed_size: 0
    .sgpr_count:     54
    .sgpr_spill_count: 0
    .symbol:         fft_rtc_fwd_len26_factors_13_2_wgs_64_tpt_2_halfLds_dp_op_CI_CI_sbrr_dirReg.kd
    .uniform_work_group_size: 1
    .uses_dynamic_stack: false
    .vgpr_count:     117
    .vgpr_spill_count: 0
    .wavefront_size: 64
amdhsa.target:   amdgcn-amd-amdhsa--gfx906
amdhsa.version:
  - 1
  - 2
...

	.end_amdgpu_metadata
